;; amdgpu-corpus repo=ROCm/rocFFT kind=compiled arch=gfx950 opt=O3
	.text
	.amdgcn_target "amdgcn-amd-amdhsa--gfx950"
	.amdhsa_code_object_version 6
	.protected	fft_rtc_fwd_len64_factors_4_4_4_wgs_64_tpt_4_halfLds_dim2_sp_ip_CI_sbcc_twdbase8_3step_dirReg_intrinsicReadWrite ; -- Begin function fft_rtc_fwd_len64_factors_4_4_4_wgs_64_tpt_4_halfLds_dim2_sp_ip_CI_sbcc_twdbase8_3step_dirReg_intrinsicReadWrite
	.globl	fft_rtc_fwd_len64_factors_4_4_4_wgs_64_tpt_4_halfLds_dim2_sp_ip_CI_sbcc_twdbase8_3step_dirReg_intrinsicReadWrite
	.p2align	8
	.type	fft_rtc_fwd_len64_factors_4_4_4_wgs_64_tpt_4_halfLds_dim2_sp_ip_CI_sbcc_twdbase8_3step_dirReg_intrinsicReadWrite,@function
fft_rtc_fwd_len64_factors_4_4_4_wgs_64_tpt_4_halfLds_dim2_sp_ip_CI_sbcc_twdbase8_3step_dirReg_intrinsicReadWrite: ; @fft_rtc_fwd_len64_factors_4_4_4_wgs_64_tpt_4_halfLds_dim2_sp_ip_CI_sbcc_twdbase8_3step_dirReg_intrinsicReadWrite
; %bb.0:
	s_load_dwordx4 s[4:7], s[0:1], 0x10
	s_mov_b32 s3, 0
	s_mov_b64 s[14:15], 0
	s_waitcnt lgkmcnt(0)
	s_load_dwordx2 s[10:11], s[4:5], 0x8
	s_load_dwordx2 s[8:9], s[0:1], 0x50
	s_nop 0
	s_load_dwordx2 s[4:5], s[6:7], 0x0
	s_waitcnt lgkmcnt(0)
	s_add_u32 s12, s10, -1
	s_addc_u32 s13, s11, -1
	s_lshr_b64 s[12:13], s[12:13], 4
	s_add_u32 s12, s12, 1
	s_addc_u32 s13, s13, 0
	v_mov_b64_e32 v[2:3], s[12:13]
	v_cmp_lt_u64_e32 vcc, s[2:3], v[2:3]
	s_cbranch_vccnz .LBB0_2
; %bb.1:
	v_cvt_f32_u32_e32 v1, s12
	s_sub_i32 s3, 0, s12
	v_rcp_iflag_f32_e32 v1, v1
	s_nop 0
	v_mul_f32_e32 v1, 0x4f7ffffe, v1
	v_cvt_u32_f32_e32 v1, v1
	s_nop 0
	v_readfirstlane_b32 s5, v1
	s_mul_i32 s3, s3, s5
	s_mul_hi_u32 s3, s5, s3
	s_add_i32 s5, s5, s3
	s_mul_hi_u32 s3, s2, s5
	s_mul_i32 s14, s3, s12
	s_sub_i32 s14, s2, s14
	s_add_i32 s5, s3, 1
	s_sub_i32 s15, s14, s12
	s_cmp_ge_u32 s14, s12
	s_cselect_b32 s3, s5, s3
	s_cselect_b32 s14, s15, s14
	s_add_i32 s5, s3, 1
	s_cmp_ge_u32 s14, s12
	s_cselect_b32 s14, s5, s3
.LBB0_2:
	s_mul_i32 s3, s14, s13
	s_mul_hi_u32 s5, s14, s12
	s_load_dwordx4 s[16:19], s[6:7], 0x8
	s_add_i32 s5, s5, s3
	s_mul_i32 s3, s14, s12
	s_sub_u32 s2, s2, s3
	s_subb_u32 s3, 0, s5
	s_lshl_b64 s[6:7], s[2:3], 4
	v_mov_b32_e32 v1, s2
	v_alignbit_b32 v1, s3, v1, 28
	s_waitcnt lgkmcnt(0)
	s_mul_i32 s2, s6, s17
	s_mul_hi_u32 s3, s6, s16
	v_mul_lo_u32 v1, v1, s16
	s_add_i32 s3, s3, s2
	s_mul_i32 s2, s6, s16
	v_add_u32_e32 v3, s3, v1
	v_mov_b32_e32 v2, s2
	s_mul_i32 s2, s19, s14
	s_mul_hi_u32 s3, s18, s14
	s_add_i32 s3, s3, s2
	s_mul_i32 s2, s18, s14
	v_lshl_add_u64 v[14:15], s[2:3], 0, v[2:3]
	s_add_u32 s2, s6, 16
	v_and_b32_e32 v15, 15, v0
	s_addc_u32 s3, s7, 0
	v_mov_b64_e32 v[2:3], s[10:11]
	v_or_b32_e32 v18, s6, v15
	v_mov_b32_e32 v19, s7
	v_cmp_le_u64_e32 vcc, s[2:3], v[2:3]
	v_mad_u64_u32 v[16:17], s[2:3], s16, v15, 0
	v_cmp_gt_u64_e64 s[2:3], s[10:11], v[18:19]
	v_lshrrev_b32_e32 v1, 4, v0
	s_or_b64 s[6:7], vcc, s[2:3]
	v_mov_b32_e32 v2, 0
	v_mov_b32_e32 v4, 0
	v_mov_b32_e32 v5, 0
	s_and_saveexec_b64 s[2:3], s[6:7]
	s_cbranch_execz .LBB0_4
; %bb.3:
	v_mul_lo_u32 v3, s4, v1
	v_add3_u32 v4, v14, v16, v3
	v_mov_b32_e32 v5, 0
	v_lshl_add_u64 v[4:5], v[4:5], 3, s[8:9]
	global_load_dwordx2 v[4:5], v[4:5], off
.LBB0_4:
	s_or_b64 exec, exec, s[2:3]
	v_mov_b32_e32 v3, 0
	s_and_saveexec_b64 s[2:3], s[6:7]
	s_cbranch_execz .LBB0_6
; %bb.5:
	v_add_u32_e32 v2, 16, v1
	v_mul_lo_u32 v2, s4, v2
	v_add3_u32 v2, v14, v16, v2
	v_mov_b32_e32 v3, 0
	v_lshl_add_u64 v[2:3], v[2:3], 3, s[8:9]
	global_load_dwordx2 v[2:3], v[2:3], off
.LBB0_6:
	s_or_b64 exec, exec, s[2:3]
	v_mov_b32_e32 v6, 0
	v_mov_b32_e32 v8, 0
	v_mov_b32_e32 v9, 0
	s_and_saveexec_b64 s[2:3], s[6:7]
	s_cbranch_execz .LBB0_8
; %bb.7:
	v_add_u32_e32 v7, 32, v1
	v_mul_lo_u32 v7, s4, v7
	v_add3_u32 v8, v14, v16, v7
	v_mov_b32_e32 v9, 0
	v_lshl_add_u64 v[8:9], v[8:9], 3, s[8:9]
	global_load_dwordx2 v[8:9], v[8:9], off
.LBB0_8:
	s_or_b64 exec, exec, s[2:3]
	v_mov_b32_e32 v7, 0
	s_and_saveexec_b64 s[2:3], s[6:7]
	s_cbranch_execz .LBB0_10
; %bb.9:
	v_add_u32_e32 v6, 48, v1
	v_mul_lo_u32 v6, s4, v6
	v_add3_u32 v6, v14, v16, v6
	v_mov_b32_e32 v7, 0
	v_lshl_add_u64 v[6:7], v[6:7], 3, s[8:9]
	global_load_dwordx2 v[6:7], v[6:7], off
.LBB0_10:
	s_or_b64 exec, exec, s[2:3]
	v_add_u32_e32 v40, 4, v1
	v_mov_b32_e32 v10, 0
	v_mov_b32_e32 v12, 0
	v_mov_b32_e32 v13, 0
	s_and_saveexec_b64 s[2:3], s[6:7]
	s_cbranch_execz .LBB0_12
; %bb.11:
	v_mul_lo_u32 v11, s4, v40
	v_add3_u32 v12, v14, v16, v11
	v_mov_b32_e32 v13, 0
	v_lshl_add_u64 v[12:13], v[12:13], 3, s[8:9]
	global_load_dwordx2 v[12:13], v[12:13], off
.LBB0_12:
	s_or_b64 exec, exec, s[2:3]
	v_mov_b32_e32 v11, 0
	s_and_saveexec_b64 s[2:3], s[6:7]
	s_cbranch_execz .LBB0_14
; %bb.13:
	v_add_u32_e32 v10, 20, v1
	v_mul_lo_u32 v10, s4, v10
	v_add3_u32 v10, v14, v16, v10
	v_mov_b32_e32 v11, 0
	v_lshl_add_u64 v[10:11], v[10:11], 3, s[8:9]
	global_load_dwordx2 v[10:11], v[10:11], off
.LBB0_14:
	s_or_b64 exec, exec, s[2:3]
	v_mov_b32_e32 v20, 0
	v_mov_b32_e32 v22, 0
	v_mov_b32_e32 v23, 0
	s_and_saveexec_b64 s[2:3], s[6:7]
	s_cbranch_execz .LBB0_16
; %bb.15:
	v_add_u32_e32 v17, 36, v1
	v_mul_lo_u32 v17, s4, v17
	v_add3_u32 v22, v14, v16, v17
	v_mov_b32_e32 v23, 0
	v_lshl_add_u64 v[22:23], v[22:23], 3, s[8:9]
	global_load_dwordx2 v[22:23], v[22:23], off
.LBB0_16:
	s_or_b64 exec, exec, s[2:3]
	v_mov_b32_e32 v21, 0
	s_and_saveexec_b64 s[2:3], s[6:7]
	s_cbranch_execz .LBB0_18
; %bb.17:
	v_add_u32_e32 v17, 52, v1
	v_mul_lo_u32 v17, s4, v17
	v_add3_u32 v20, v14, v16, v17
	v_mov_b32_e32 v21, 0
	v_lshl_add_u64 v[20:21], v[20:21], 3, s[8:9]
	global_load_dwordx2 v[20:21], v[20:21], off
.LBB0_18:
	s_or_b64 exec, exec, s[2:3]
	v_add_u32_e32 v42, 8, v1
	;; [unrolled: 52-line block ×3, first 2 shown]
	v_mov_b32_e32 v32, 0
	v_mov_b32_e32 v34, 0
	;; [unrolled: 1-line block ×3, first 2 shown]
	s_and_saveexec_b64 s[2:3], s[6:7]
	s_cbranch_execz .LBB0_28
; %bb.27:
	v_mul_lo_u32 v17, s4, v41
	v_add3_u32 v34, v14, v16, v17
	v_mov_b32_e32 v35, 0
	v_lshl_add_u64 v[34:35], v[34:35], 3, s[8:9]
	global_load_dwordx2 v[34:35], v[34:35], off
.LBB0_28:
	s_or_b64 exec, exec, s[2:3]
	v_mov_b32_e32 v33, 0
	s_and_saveexec_b64 s[2:3], s[6:7]
	s_cbranch_execz .LBB0_30
; %bb.29:
	v_add_u32_e32 v17, 28, v1
	v_mul_lo_u32 v17, s4, v17
	v_add3_u32 v32, v14, v16, v17
	v_mov_b32_e32 v33, 0
	v_lshl_add_u64 v[32:33], v[32:33], 3, s[8:9]
	global_load_dwordx2 v[32:33], v[32:33], off
.LBB0_30:
	s_or_b64 exec, exec, s[2:3]
	s_load_dwordx2 s[2:3], s[0:1], 0x0
	v_mov_b32_e32 v36, 0
	v_mov_b32_e32 v38, 0
	;; [unrolled: 1-line block ×3, first 2 shown]
	s_and_saveexec_b64 s[10:11], s[6:7]
	s_cbranch_execz .LBB0_32
; %bb.31:
	v_add_u32_e32 v17, 44, v1
	v_mul_lo_u32 v17, s4, v17
	v_add3_u32 v38, v14, v16, v17
	v_mov_b32_e32 v39, 0
	v_lshl_add_u64 v[38:39], v[38:39], 3, s[8:9]
	global_load_dwordx2 v[38:39], v[38:39], off
.LBB0_32:
	s_or_b64 exec, exec, s[10:11]
	v_mov_b32_e32 v37, 0
	s_and_saveexec_b64 s[10:11], s[6:7]
	s_cbranch_execz .LBB0_34
; %bb.33:
	v_add_u32_e32 v17, 60, v1
	v_mul_lo_u32 v17, s4, v17
	v_add3_u32 v36, v14, v16, v17
	v_mov_b32_e32 v37, 0
	v_lshl_add_u64 v[36:37], v[36:37], 3, s[8:9]
	global_load_dwordx2 v[36:37], v[36:37], off
.LBB0_34:
	s_or_b64 exec, exec, s[10:11]
	s_waitcnt vmcnt(0)
	v_pk_add_f32 v[8:9], v[4:5], v[8:9] neg_lo:[0,1] neg_hi:[0,1]
	s_movk_i32 s5, 0xff40
	v_fma_f32 v17, v4, 2.0, -v8
	v_fma_f32 v19, v5, 2.0, -v9
	v_pk_add_f32 v[4:5], v[2:3], v[6:7] neg_lo:[0,1] neg_hi:[0,1]
	s_nop 0
	v_fma_f32 v2, v2, 2.0, -v4
	v_fma_f32 v3, v3, 2.0, -v5
	v_sub_f32_e32 v6, v17, v2
	v_sub_f32_e32 v43, v19, v3
	v_fma_f32 v7, v17, 2.0, -v6
	v_fma_f32 v17, v19, 2.0, -v43
	v_sub_f32_e32 v19, v8, v5
	v_add_f32_e32 v44, v9, v4
	v_pk_add_f32 v[2:3], v[12:13], v[22:23] neg_lo:[0,1] neg_hi:[0,1]
	v_pk_add_f32 v[4:5], v[10:11], v[20:21] neg_lo:[0,1] neg_hi:[0,1]
	v_fma_f32 v45, v9, 2.0, -v44
	v_fma_f32 v9, v12, 2.0, -v2
	;; [unrolled: 1-line block ×4, first 2 shown]
	v_sub_f32_e32 v46, v12, v11
	v_sub_f32_e32 v11, v2, v5
	v_add_f32_e32 v48, v3, v4
	v_fma_f32 v10, v10, 2.0, -v4
	v_fma_f32 v47, v12, 2.0, -v46
	;; [unrolled: 1-line block ×4, first 2 shown]
	v_pk_add_f32 v[2:3], v[26:27], v[30:31] neg_lo:[0,1] neg_hi:[0,1]
	v_pk_add_f32 v[4:5], v[24:25], v[28:29] neg_lo:[0,1] neg_hi:[0,1]
	v_fma_f32 v20, v27, 2.0, -v3
	v_fma_f32 v22, v25, 2.0, -v5
	;; [unrolled: 1-line block ×3, first 2 shown]
	v_sub_f32_e32 v24, v20, v22
	v_fma_f32 v13, v26, 2.0, -v2
	v_fma_f32 v25, v20, 2.0, -v24
	v_sub_f32_e32 v20, v2, v5
	v_add_f32_e32 v26, v3, v4
	v_fma_f32 v22, v2, 2.0, -v20
	v_fma_f32 v27, v3, 2.0, -v26
	v_pk_add_f32 v[2:3], v[34:35], v[38:39] neg_lo:[0,1] neg_hi:[0,1]
	v_lshlrev_b32_e32 v31, 8, v1
	v_lshlrev_b32_e32 v38, 2, v15
	v_fma_f32 v8, v8, 2.0, -v19
	v_add3_u32 v15, 0, v31, v38
	ds_write2_b32 v15, v7, v8 offset1:16
	ds_write2_b32 v15, v6, v19 offset0:32 offset1:48
	v_lshlrev_b32_e32 v6, 8, v40
	v_pk_add_f32 v[4:5], v[32:33], v[36:37] neg_lo:[0,1] neg_hi:[0,1]
	v_add3_u32 v19, 0, v6, v38
	v_lshlrev_b32_e32 v6, 8, v42
	v_fma_f32 v23, v34, 2.0, -v2
	v_fma_f32 v29, v32, 2.0, -v4
	v_add3_u32 v31, 0, v6, v38
	v_lshlrev_b32_e32 v6, 8, v41
	v_sub_f32_e32 v10, v9, v10
	v_sub_f32_e32 v21, v13, v21
	v_fma_f32 v28, v35, 2.0, -v3
	v_fma_f32 v30, v33, 2.0, -v5
	v_sub_f32_e32 v29, v23, v29
	v_sub_f32_e32 v5, v2, v5
	v_add3_u32 v32, 0, v6, v38
	v_fma_f32 v9, v9, 2.0, -v10
	v_fma_f32 v13, v13, 2.0, -v21
	v_sub_f32_e32 v30, v28, v30
	v_fma_f32 v23, v23, 2.0, -v29
	v_add_f32_e32 v4, v3, v4
	v_fma_f32 v2, v2, 2.0, -v5
	v_mad_i32_i24 v67, v1, s5, v15
	v_mad_i32_i24 v64, v41, s5, v32
	v_fma_f32 v28, v28, 2.0, -v30
	v_fma_f32 v3, v3, 2.0, -v4
	ds_write2_b32 v19, v9, v12 offset1:16
	ds_write2_b32 v19, v10, v11 offset0:32 offset1:48
	ds_write2_b32 v31, v13, v22 offset1:16
	ds_write2_b32 v31, v21, v20 offset0:32 offset1:48
	;; [unrolled: 2-line block ×3, first 2 shown]
	s_waitcnt lgkmcnt(0)
	; wave barrier
	s_waitcnt lgkmcnt(0)
	ds_read2st64_b32 v[6:7], v67 offset1:4
	v_mad_i32_i24 v72, v40, s5, v19
	ds_read2st64_b32 v[8:9], v67 offset0:11 offset1:12
	ds_read2st64_b32 v[10:11], v67 offset0:9 offset1:10
	;; [unrolled: 1-line block ×5, first 2 shown]
	v_mad_i32_i24 v70, v42, s5, v31
	ds_read_b32 v39, v64
	ds_read_b32 v50, v70
	;; [unrolled: 1-line block ×3, first 2 shown]
	ds_read_b32 v52, v67 offset:3840
	s_waitcnt lgkmcnt(0)
	; wave barrier
	s_waitcnt lgkmcnt(0)
	ds_write2_b32 v15, v17, v45 offset1:16
	ds_write2_b32 v15, v43, v44 offset0:32 offset1:48
	ds_write2_b32 v19, v47, v49 offset1:16
	ds_write2_b32 v19, v46, v48 offset0:32 offset1:48
	;; [unrolled: 2-line block ×4, first 2 shown]
	v_bfe_u32 v43, v0, 4, 2
	v_mul_u32_u24_e32 v2, 3, v43
	v_lshlrev_b32_e32 v15, 3, v2
	s_waitcnt lgkmcnt(0)
	; wave barrier
	s_waitcnt lgkmcnt(0)
	global_load_dwordx4 v[2:5], v15, s[2:3]
	global_load_dwordx2 v[24:25], v15, s[2:3] offset:16
	ds_read2st64_b32 v[26:27], v67 offset1:4
	ds_read2st64_b32 v[28:29], v67 offset0:11 offset1:12
	ds_read2st64_b32 v[30:31], v67 offset0:9 offset1:10
	ds_read2st64_b32 v[32:33], v67 offset0:7 offset1:8
	ds_read2st64_b32 v[34:35], v67 offset0:5 offset1:6
	ds_read2st64_b32 v[36:37], v67 offset0:13 offset1:14
	ds_read_b32 v15, v64
	ds_read_b32 v17, v70
	;; [unrolled: 1-line block ×3, first 2 shown]
	ds_read_b32 v44, v67 offset:3840
	s_movk_i32 s5, 0xf0
	s_waitcnt lgkmcnt(0)
	; wave barrier
	s_waitcnt vmcnt(1) lgkmcnt(0)
	v_mul_f32_e32 v45, v27, v3
	v_fma_f32 v45, v7, v2, -v45
	v_mul_f32_e32 v7, v7, v3
	v_fmac_f32_e32 v7, v27, v2
	v_mul_f32_e32 v27, v33, v5
	v_fma_f32 v27, v13, v4, -v27
	v_mul_f32_e32 v13, v13, v5
	v_fmac_f32_e32 v13, v33, v4
	s_waitcnt vmcnt(0)
	v_mul_f32_e32 v33, v29, v25
	v_fma_f32 v33, v9, v24, -v33
	v_mul_f32_e32 v9, v9, v25
	v_fmac_f32_e32 v9, v29, v24
	v_mul_f32_e32 v29, v34, v3
	v_fma_f32 v29, v20, v2, -v29
	v_mul_f32_e32 v20, v20, v3
	v_fmac_f32_e32 v20, v34, v2
	;; [unrolled: 4-line block ×3, first 2 shown]
	v_mul_f32_e32 v30, v35, v3
	v_fma_f32 v30, v21, v2, -v30
	v_mul_f32_e32 v21, v21, v3
	v_mul_f32_e32 v46, v36, v25
	v_fma_f32 v46, v22, v24, -v46
	v_fmac_f32_e32 v21, v35, v2
	v_mul_f32_e32 v22, v22, v25
	v_mul_f32_e32 v35, v31, v5
	v_fmac_f32_e32 v22, v36, v24
	v_fma_f32 v35, v11, v4, -v35
	v_mul_f32_e32 v11, v11, v5
	v_mul_f32_e32 v36, v32, v3
	;; [unrolled: 1-line block ×3, first 2 shown]
	v_fmac_f32_e32 v11, v31, v4
	v_mul_f32_e32 v31, v37, v25
	v_fma_f32 v36, v12, v2, -v36
	v_fmac_f32_e32 v3, v32, v2
	v_mul_f32_e32 v2, v28, v5
	v_mul_f32_e32 v5, v8, v5
	v_fma_f32 v31, v23, v24, -v31
	v_mul_f32_e32 v23, v23, v25
	v_fma_f32 v2, v8, v4, -v2
	v_fmac_f32_e32 v5, v28, v4
	v_mul_f32_e32 v4, v44, v25
	v_mul_f32_e32 v8, v52, v25
	v_sub_f32_e32 v13, v26, v13
	v_sub_f32_e32 v9, v7, v9
	v_fmac_f32_e32 v23, v37, v24
	v_fma_f32 v4, v52, v24, -v4
	v_fmac_f32_e32 v8, v44, v24
	v_fma_f32 v24, v26, 2.0, -v13
	v_fma_f32 v7, v7, 2.0, -v9
	v_sub_f32_e32 v7, v24, v7
	v_sub_f32_e32 v10, v19, v10
	;; [unrolled: 1-line block ×5, first 2 shown]
	v_fma_f32 v28, v24, 2.0, -v7
	v_sub_f32_e32 v24, v51, v34
	v_fma_f32 v19, v19, 2.0, -v10
	v_sub_f32_e32 v27, v29, v46
	v_fma_f32 v20, v20, 2.0, -v22
	v_fma_f32 v26, v45, 2.0, -v25
	v_add_f32_e32 v37, v13, v25
	v_fma_f32 v25, v51, 2.0, -v24
	v_fma_f32 v29, v29, 2.0, -v27
	v_sub_f32_e32 v44, v19, v20
	v_sub_f32_e32 v29, v25, v29
	v_fma_f32 v45, v19, 2.0, -v44
	v_add_f32_e32 v46, v10, v27
	v_sub_f32_e32 v19, v50, v35
	v_sub_f32_e32 v27, v30, v31
	;; [unrolled: 1-line block ×4, first 2 shown]
	v_fma_f32 v20, v25, 2.0, -v29
	v_sub_f32_e32 v11, v17, v11
	v_fma_f32 v25, v50, 2.0, -v19
	v_sub_f32_e32 v23, v21, v23
	v_fma_f32 v30, v30, 2.0, -v27
	v_fma_f32 v15, v15, 2.0, -v5
	;; [unrolled: 1-line block ×5, first 2 shown]
	v_sub_f32_e32 v30, v25, v30
	v_sub_f32_e32 v23, v19, v23
	;; [unrolled: 1-line block ×5, first 2 shown]
	v_fma_f32 v21, v25, 2.0, -v30
	v_fma_f32 v25, v19, 2.0, -v23
	v_sub_f32_e32 v2, v39, v2
	v_fma_f32 v19, v36, 2.0, -v4
	v_fma_f32 v36, v15, 2.0, -v3
	v_lshlrev_b32_e32 v15, 2, v1
	v_fma_f32 v6, v6, 2.0, -v12
	v_fma_f32 v47, v17, 2.0, -v31
	v_fma_f32 v17, v39, 2.0, -v2
	v_and_or_b32 v15, v15, s5, v43
	v_sub_f32_e32 v26, v6, v26
	v_sub_f32_e32 v9, v12, v9
	v_add_f32_e32 v48, v11, v27
	v_sub_f32_e32 v27, v17, v19
	v_lshlrev_b32_e32 v15, 6, v15
	v_fma_f32 v6, v6, 2.0, -v26
	v_fma_f32 v12, v12, 2.0, -v9
	;; [unrolled: 1-line block ×3, first 2 shown]
	v_add3_u32 v39, 0, v15, v38
	v_lshlrev_b32_e32 v19, 2, v40
	s_movk_i32 s5, 0x1f0
	v_lshlrev_b32_e32 v17, 2, v42
	v_lshlrev_b32_e32 v15, 2, v41
	ds_write2st64_b32 v39, v6, v12 offset1:1
	ds_write2st64_b32 v39, v26, v9 offset0:2 offset1:3
	v_and_or_b32 v6, v19, s5, v43
	v_and_or_b32 v9, v17, s5, v43
	;; [unrolled: 1-line block ×3, first 2 shown]
	v_sub_f32_e32 v22, v24, v22
	v_sub_f32_e32 v8, v2, v8
	v_lshlrev_b32_e32 v6, 6, v6
	v_lshlrev_b32_e32 v9, 6, v9
	v_lshlrev_b32_e32 v12, 6, v12
	v_fma_f32 v24, v24, 2.0, -v22
	v_fma_f32 v2, v2, 2.0, -v8
	v_add3_u32 v6, 0, v6, v38
	v_add3_u32 v9, 0, v9, v38
	;; [unrolled: 1-line block ×3, first 2 shown]
	ds_write2st64_b32 v6, v20, v24 offset1:1
	ds_write2st64_b32 v6, v29, v22 offset0:2 offset1:3
	ds_write2st64_b32 v9, v21, v25 offset1:1
	ds_write2st64_b32 v9, v30, v23 offset0:2 offset1:3
	;; [unrolled: 2-line block ×3, first 2 shown]
	s_waitcnt lgkmcnt(0)
	; wave barrier
	s_waitcnt lgkmcnt(0)
	ds_read2st64_b32 v[20:21], v67 offset1:4
	ds_read2st64_b32 v[22:23], v67 offset0:11 offset1:12
	ds_read2st64_b32 v[34:35], v67 offset0:9 offset1:10
	;; [unrolled: 1-line block ×5, first 2 shown]
	ds_read_b32 v71, v64
	ds_read_b32 v68, v70
	;; [unrolled: 1-line block ×3, first 2 shown]
	ds_read_b32 v74, v67 offset:3840
	v_fma_f32 v13, v13, 2.0, -v37
	v_add_f32_e32 v4, v5, v4
	v_fma_f32 v10, v10, 2.0, -v46
	v_fma_f32 v11, v11, 2.0, -v48
	;; [unrolled: 1-line block ×3, first 2 shown]
	s_waitcnt lgkmcnt(0)
	; wave barrier
	s_waitcnt lgkmcnt(0)
	ds_write2st64_b32 v39, v28, v13 offset1:1
	ds_write2st64_b32 v39, v7, v37 offset0:2 offset1:3
	ds_write2st64_b32 v6, v45, v10 offset1:1
	ds_write2st64_b32 v6, v44, v46 offset0:2 offset1:3
	;; [unrolled: 2-line block ×4, first 2 shown]
	s_waitcnt lgkmcnt(0)
	; wave barrier
	s_waitcnt lgkmcnt(0)
	s_and_saveexec_b64 s[10:11], s[6:7]
	s_cbranch_execz .LBB0_36
; %bb.35:
	v_and_b32_e32 v66, 15, v42
	v_mul_u32_u24_e32 v2, 3, v66
	v_lshlrev_b32_e32 v58, 3, v2
	global_load_dwordx4 v[10:13], v58, s[2:3] offset:96
	v_and_b32_e32 v73, 15, v40
	v_mul_u32_u24_e32 v2, 3, v73
	v_lshlrev_b32_e32 v76, 3, v2
	global_load_dwordx4 v[2:5], v76, s[2:3] offset:96
	v_and_b32_e32 v69, 15, v41
	v_mul_u32_u24_e32 v6, 3, v69
	s_load_dwordx2 s[0:1], s[0:1], 0x8
	v_lshlrev_b32_e32 v82, 3, v6
	global_load_dwordx4 v[6:9], v82, s[2:3] offset:96
	v_or_b32_e32 v38, 48, v69
	v_or_b32_e32 v42, 32, v69
	v_mov_b32_e32 v75, 3
	v_mul_lo_u32 v84, v18, v38
	v_mul_lo_u32 v85, v18, v42
	v_lshlrev_b32_sdwa v43, v75, v84 dst_sel:DWORD dst_unused:UNUSED_PAD src0_sel:DWORD src1_sel:BYTE_0
	v_lshlrev_b32_sdwa v44, v75, v84 dst_sel:DWORD dst_unused:UNUSED_PAD src0_sel:DWORD src1_sel:BYTE_1
	v_lshlrev_b32_sdwa v42, v75, v85 dst_sel:DWORD dst_unused:UNUSED_PAD src0_sel:DWORD src1_sel:BYTE_0
	ds_read2st64_b32 v[36:37], v67 offset0:5 offset1:6
	ds_read2st64_b32 v[28:29], v67 offset0:11 offset1:12
	;; [unrolled: 1-line block ×4, first 2 shown]
	s_waitcnt lgkmcnt(0)
	global_load_dwordx2 v[38:39], v43, s[0:1]
	global_load_dwordx2 v[40:41], v44, s[0:1] offset:2048
	v_or_b32_e32 v43, 16, v69
	v_lshlrev_b32_sdwa v44, v75, v85 dst_sel:DWORD dst_unused:UNUSED_PAD src0_sel:DWORD src1_sel:BYTE_1
	global_load_dwordx2 v[46:47], v42, s[0:1]
	global_load_dwordx2 v[48:49], v44, s[0:1] offset:2048
	v_mul_lo_u32 v86, v18, v43
	v_mul_lo_u32 v83, v18, v69
	v_lshlrev_b32_sdwa v53, v75, v86 dst_sel:DWORD dst_unused:UNUSED_PAD src0_sel:DWORD src1_sel:BYTE_0
	v_or_b32_e32 v52, 48, v66
	v_lshlrev_b32_sdwa v43, v75, v83 dst_sel:DWORD dst_unused:UNUSED_PAD src0_sel:DWORD src1_sel:BYTE_0
	v_lshlrev_b32_sdwa v54, v75, v86 dst_sel:DWORD dst_unused:UNUSED_PAD src0_sel:DWORD src1_sel:BYTE_1
	global_load_dwordx2 v[44:45], v53, s[0:1]
	global_load_dwordx2 v[50:51], v54, s[0:1] offset:2048
	v_lshlrev_b32_sdwa v56, v75, v83 dst_sel:DWORD dst_unused:UNUSED_PAD src0_sel:DWORD src1_sel:BYTE_1
	v_mul_lo_u32 v87, v18, v52
	global_load_dwordx2 v[52:53], v43, s[0:1]
	global_load_dwordx2 v[54:55], v56, s[0:1] offset:2048
	v_or_b32_e32 v42, 32, v66
	v_mul_lo_u32 v88, v18, v42
	v_lshlrev_b32_sdwa v59, v75, v87 dst_sel:DWORD dst_unused:UNUSED_PAD src0_sel:DWORD src1_sel:BYTE_0
	v_lshlrev_b32_sdwa v77, v75, v87 dst_sel:DWORD dst_unused:UNUSED_PAD src0_sel:DWORD src1_sel:BYTE_1
	global_load_dwordx2 v[42:43], v58, s[2:3] offset:112
	global_load_dwordx2 v[56:57], v59, s[0:1]
	global_load_dwordx2 v[60:61], v77, s[0:1] offset:2048
	v_lshlrev_b32_sdwa v89, v75, v88 dst_sel:DWORD dst_unused:UNUSED_PAD src0_sel:DWORD src1_sel:BYTE_0
	v_lshlrev_b32_sdwa v90, v75, v88 dst_sel:DWORD dst_unused:UNUSED_PAD src0_sel:DWORD src1_sel:BYTE_1
	v_bfe_u32 v107, v0, 4, 4
	v_or_b32_e32 v1, 48, v1
	v_mul_lo_u32 v1, v18, v1
	v_lshrrev_b32_e32 v0, 2, v0
	v_add_u32_e32 v14, v14, v16
	s_waitcnt vmcnt(13)
	v_mul_f32_e32 v80, v35, v13
	v_mul_f32_e32 v58, v37, v11
	;; [unrolled: 1-line block ×3, first 2 shown]
	v_fmac_f32_e32 v80, v63, v12
	v_fma_f32 v78, v33, v10, -v58
	v_fma_f32 v81, v35, v12, -v13
	global_load_dwordx2 v[12:13], v89, s[0:1]
	global_load_dwordx2 v[58:59], v90, s[0:1] offset:2048
	v_mul_f32_e32 v79, v33, v11
	v_fmac_f32_e32 v79, v37, v10
	v_or_b32_e32 v10, 16, v66
	v_mul_lo_u32 v89, v18, v10
	global_load_dwordx2 v[10:11], v76, s[2:3] offset:112
	s_waitcnt vmcnt(15)
	v_mul_f32_e32 v76, v34, v5
	v_mul_f32_e32 v5, v62, v5
	v_fmac_f32_e32 v76, v62, v4
	v_fma_f32 v77, v34, v4, -v5
	v_mul_f32_e32 v4, v36, v3
	v_mul_f32_e32 v63, v32, v3
	v_fma_f32 v62, v32, v2, -v4
	global_load_dwordx2 v[4:5], v82, s[2:3] offset:112
	v_fmac_f32_e32 v63, v36, v2
	s_waitcnt vmcnt(15)
	v_mul_f32_e32 v82, v22, v9
	v_mul_f32_e32 v2, v30, v7
	v_bfe_u32 v3, v84, 16, 8
	v_mul_f32_e32 v9, v28, v9
	v_fmac_f32_e32 v82, v28, v8
	v_fma_f32 v91, v24, v6, -v2
	v_mov_b32_e32 v28, 0x1000
	v_bfe_u32 v2, v85, 16, 8
	v_mul_f32_e32 v84, v24, v7
	v_fma_f32 v92, v22, v8, -v9
	v_lshl_or_b32 v8, v3, 3, v28
	v_lshl_or_b32 v9, v2, 3, v28
	v_fmac_f32_e32 v84, v30, v6
	global_load_dwordx2 v[2:3], v9, s[0:1]
	global_load_dwordx2 v[6:7], v8, s[0:1]
	s_waitcnt vmcnt(15)
	v_mul_f32_e32 v8, v39, v41
	s_waitcnt vmcnt(13)
	v_mul_f32_e32 v22, v47, v49
	v_fma_f32 v93, v38, v40, -v8
	v_bfe_u32 v8, v86, 16, 8
	v_fma_f32 v86, v46, v48, -v22
	v_bfe_u32 v22, v83, 16, 8
	v_lshlrev_b32_sdwa v33, v75, v89 dst_sel:DWORD dst_unused:UNUSED_PAD src0_sel:DWORD src1_sel:BYTE_1
	v_mul_f32_e32 v85, v38, v41
	v_lshl_or_b32 v8, v8, 3, v28
	v_lshl_or_b32 v22, v22, 3, v28
	v_fmac_f32_e32 v85, v39, v40
	global_load_dwordx2 v[40:41], v33, s[0:1] offset:2048
	v_bfe_u32 v24, v88, 16, 8
	global_load_dwordx2 v[8:9], v8, s[0:1]
	v_lshl_or_b32 v24, v24, 3, v28
	global_load_dwordx2 v[32:33], v22, s[0:1]
	s_waitcnt vmcnt(14)
	v_mul_f32_e32 v22, v45, v51
	v_fma_f32 v83, v44, v50, -v22
	s_waitcnt vmcnt(12)
	v_mul_f32_e32 v22, v53, v55
	v_fma_f32 v96, v52, v54, -v22
	v_bfe_u32 v22, v87, 16, 8
	v_lshl_or_b32 v22, v22, 3, v28
	v_mul_f32_e32 v55, v52, v55
	global_load_dwordx2 v[34:35], v24, s[0:1]
	global_load_dwordx2 v[36:37], v22, s[0:1]
	s_waitcnt vmcnt(11)
	v_mul_f32_e32 v22, v57, v61
	v_fmac_f32_e32 v55, v53, v54
	v_fma_f32 v54, v56, v60, -v22
	v_bfe_u32 v22, v89, 16, 8
	v_lshlrev_b32_sdwa v90, v75, v89 dst_sel:DWORD dst_unused:UNUSED_PAD src0_sel:DWORD src1_sel:BYTE_0
	v_mul_f32_e32 v95, v44, v51
	v_lshl_or_b32 v22, v22, 3, v28
	v_fmac_f32_e32 v95, v45, v50
	v_mul_f32_e32 v56, v56, v61
	global_load_dwordx2 v[44:45], v90, s[0:1]
	global_load_dwordx2 v[38:39], v22, s[0:1]
	v_fmac_f32_e32 v56, v57, v60
	v_mul_f32_e32 v94, v46, v49
	v_fmac_f32_e32 v94, v47, v48
	v_mul_f32_e32 v98, v27, v43
	s_waitcnt vmcnt(11)
	v_mul_f32_e32 v22, v13, v59
	v_fma_f32 v57, v12, v58, -v22
	v_mul_lo_u32 v22, v18, v66
	v_mul_f32_e32 v59, v12, v59
	v_lshlrev_b32_sdwa v30, v75, v22 dst_sel:DWORD dst_unused:UNUSED_PAD src0_sel:DWORD src1_sel:BYTE_1
	v_fmac_f32_e32 v59, v13, v58
	v_lshlrev_b32_sdwa v24, v75, v22 dst_sel:DWORD dst_unused:UNUSED_PAD src0_sel:DWORD src1_sel:BYTE_0
	global_load_dwordx2 v[12:13], v30, s[0:1] offset:2048
	global_load_dwordx2 v[46:47], v24, s[0:1]
	v_bfe_u32 v22, v22, 16, 8
	v_lshl_or_b32 v22, v22, 3, v28
	global_load_dwordx2 v[48:49], v22, s[0:1]
	s_waitcnt vmcnt(13)
	v_mul_f32_e32 v100, v26, v11
	s_waitcnt vmcnt(4)
	v_mul_f32_e32 v22, v45, v41
	v_fma_f32 v58, v44, v40, -v22
	v_or_b32_e32 v22, 48, v73
	v_mul_lo_u32 v22, v18, v22
	v_mul_f32_e32 v60, v44, v41
	v_lshlrev_b32_sdwa v24, v75, v22 dst_sel:DWORD dst_unused:UNUSED_PAD src0_sel:DWORD src1_sel:BYTE_0
	v_fmac_f32_e32 v60, v45, v40
	s_waitcnt vmcnt(1)
	v_mul_f32_e32 v30, v47, v13
	v_mul_f32_e32 v87, v46, v13
	v_fma_f32 v61, v46, v12, -v30
	v_fmac_f32_e32 v87, v47, v12
	v_or_b32_e32 v12, 32, v73
	v_mul_lo_u32 v50, v18, v12
	v_bfe_u32 v12, v22, 16, 8
	v_lshlrev_b32_sdwa v30, v75, v22 dst_sel:DWORD dst_unused:UNUSED_PAD src0_sel:DWORD src1_sel:BYTE_1
	v_lshl_or_b32 v22, v12, 3, v28
	v_bfe_u32 v12, v50, 16, 8
	v_lshl_or_b32 v51, v12, 3, v28
	global_load_dwordx2 v[12:13], v24, s[0:1]
	global_load_dwordx2 v[40:41], v30, s[0:1] offset:2048
	global_load_dwordx2 v[44:45], v51, s[0:1]
	global_load_dwordx2 v[46:47], v22, s[0:1]
	v_lshlrev_b32_sdwa v24, v75, v50 dst_sel:DWORD dst_unused:UNUSED_PAD src0_sel:DWORD src1_sel:BYTE_1
	s_waitcnt vmcnt(2)
	v_mul_f32_e32 v22, v13, v41
	v_mul_f32_e32 v89, v12, v41
	v_fma_f32 v88, v12, v40, -v22
	v_fmac_f32_e32 v89, v13, v40
	ds_read_b32 v72, v72
	ds_read_b32 v70, v70
	ds_read_b32 v90, v67 offset:3840
	ds_read2st64_b32 v[12:13], v67 offset0:13 offset1:14
	s_waitcnt lgkmcnt(0)
	v_mul_f32_e32 v22, v13, v43
	v_fmac_f32_e32 v98, v13, v42
	v_mul_f32_e32 v13, v12, v11
	v_fma_f32 v99, v26, v10, -v13
	v_fmac_f32_e32 v100, v12, v10
	v_or_b32_e32 v10, 16, v73
	v_mul_lo_u32 v30, v18, v10
	v_fma_f32 v97, v27, v42, -v22
	v_lshlrev_b32_sdwa v22, v75, v50 dst_sel:DWORD dst_unused:UNUSED_PAD src0_sel:DWORD src1_sel:BYTE_0
	v_bfe_u32 v10, v30, 16, 8
	v_lshl_or_b32 v40, v10, 3, v28
	global_load_dwordx2 v[10:11], v22, s[0:1]
	global_load_dwordx2 v[12:13], v24, s[0:1] offset:2048
	global_load_dwordx2 v[26:27], v40, s[0:1]
	v_lshlrev_b32_sdwa v24, v75, v30 dst_sel:DWORD dst_unused:UNUSED_PAD src0_sel:DWORD src1_sel:BYTE_1
	s_waitcnt vmcnt(1)
	v_mul_f32_e32 v22, v11, v13
	v_fma_f32 v101, v10, v12, -v22
	v_lshlrev_b32_sdwa v22, v75, v30 dst_sel:DWORD dst_unused:UNUSED_PAD src0_sel:DWORD src1_sel:BYTE_0
	v_mul_lo_u32 v30, v18, v73
	v_mul_f32_e32 v102, v10, v13
	v_bfe_u32 v10, v30, 16, 8
	v_fmac_f32_e32 v102, v11, v12
	v_lshl_or_b32 v50, v10, 3, v28
	global_load_dwordx2 v[10:11], v22, s[0:1]
	global_load_dwordx2 v[12:13], v24, s[0:1] offset:2048
	v_lshlrev_b32_sdwa v22, v75, v30 dst_sel:DWORD dst_unused:UNUSED_PAD src0_sel:DWORD src1_sel:BYTE_1
	global_load_dwordx2 v[40:41], v22, s[0:1] offset:2048
	global_load_dwordx2 v[42:43], v50, s[0:1]
	v_lshlrev_b32_sdwa v24, v75, v1 dst_sel:DWORD dst_unused:UNUSED_PAD src0_sel:DWORD src1_sel:BYTE_0
	s_waitcnt vmcnt(2)
	v_mul_f32_e32 v22, v11, v13
	v_fma_f32 v103, v10, v12, -v22
	v_mul_f32_e32 v104, v10, v13
	v_lshlrev_b32_sdwa v10, v75, v30 dst_sel:DWORD dst_unused:UNUSED_PAD src0_sel:DWORD src1_sel:BYTE_0
	v_fmac_f32_e32 v104, v11, v12
	global_load_dwordx2 v[10:11], v10, s[0:1]
	v_lshlrev_b32_sdwa v30, v75, v1 dst_sel:DWORD dst_unused:UNUSED_PAD src0_sel:DWORD src1_sel:BYTE_1
	v_bfe_u32 v1, v1, 16, 8
	v_lshl_or_b32 v1, v1, 3, v28
	s_waitcnt vmcnt(0)
	v_mul_f32_e32 v12, v11, v41
	v_fma_f32 v105, v10, v40, -v12
	v_mul_f32_e32 v106, v10, v41
	v_or_b32_e32 v10, 32, v107
	v_mul_lo_u32 v22, v18, v10
	v_bfe_u32 v10, v22, 16, 8
	v_fmac_f32_e32 v106, v11, v40
	v_lshl_or_b32 v52, v10, 3, v28
	global_load_dwordx2 v[10:11], v24, s[0:1]
	global_load_dwordx2 v[12:13], v30, s[0:1] offset:2048
	global_load_dwordx2 v[40:41], v52, s[0:1]
	global_load_dwordx2 v[50:51], v1, s[0:1]
	s_waitcnt vmcnt(2)
	v_mul_f32_e32 v1, v11, v13
	v_fma_f32 v1, v10, v12, -v1
	v_mul_f32_e32 v108, v10, v13
	v_mul_u32_u24_e32 v10, 3, v107
	v_lshlrev_b32_e32 v24, 3, v10
	v_fmac_f32_e32 v108, v11, v12
	global_load_dwordx2 v[52:53], v24, s[2:3] offset:112
	global_load_dwordx4 v[10:13], v24, s[2:3] offset:96
	s_movk_i32 s2, 0x1c0
	s_waitcnt vmcnt(0)
	v_mul_f32_e32 v109, v25, v13
	v_mul_f32_e32 v13, v31, v13
	v_fma_f32 v110, v25, v12, -v13
	ds_read2st64_b32 v[24:25], v67 offset1:4
	v_fmac_f32_e32 v109, v31, v12
	v_lshlrev_b32_sdwa v13, v75, v22 dst_sel:DWORD dst_unused:UNUSED_PAD src0_sel:DWORD src1_sel:BYTE_1
	s_waitcnt lgkmcnt(0)
	v_mul_f32_e32 v12, v25, v11
	v_fma_f32 v67, v21, v10, -v12
	v_mul_f32_e32 v21, v21, v11
	v_fmac_f32_e32 v21, v25, v10
	v_mul_f32_e32 v10, v29, v53
	v_fma_f32 v25, v23, v52, -v10
	v_mul_f32_e32 v53, v23, v53
	v_or_b32_e32 v10, 16, v107
	v_fmac_f32_e32 v53, v29, v52
	v_mul_lo_u32 v29, v18, v10
	v_lshlrev_b32_sdwa v12, v75, v22 dst_sel:DWORD dst_unused:UNUSED_PAD src0_sel:DWORD src1_sel:BYTE_0
	v_bfe_u32 v10, v29, 16, 8
	v_lshl_or_b32 v52, v10, 3, v28
	global_load_dwordx2 v[10:11], v12, s[0:1]
	global_load_dwordx2 v[30:31], v13, s[0:1] offset:2048
	v_lshlrev_b32_sdwa v111, v75, v29 dst_sel:DWORD dst_unused:UNUSED_PAD src0_sel:DWORD src1_sel:BYTE_0
	global_load_dwordx2 v[12:13], v52, s[0:1]
	global_load_dwordx2 v[22:23], v111, s[0:1]
	v_lshlrev_b32_sdwa v29, v75, v29 dst_sel:DWORD dst_unused:UNUSED_PAD src0_sel:DWORD src1_sel:BYTE_1
	v_mul_lo_u32 v18, v18, v107
	v_sub_f32_e32 v25, v67, v25
	v_sub_f32_e32 v53, v21, v53
	s_waitcnt vmcnt(2)
	v_mul_f32_e32 v52, v11, v31
	v_fma_f32 v52, v10, v30, -v52
	v_mul_f32_e32 v10, v10, v31
	v_fmac_f32_e32 v10, v11, v30
	v_mul_f32_e32 v11, v90, v5
	v_mul_f32_e32 v5, v74, v5
	v_fma_f32 v11, v74, v4, -v11
	v_fmac_f32_e32 v5, v90, v4
	v_mul_f32_e32 v4, v85, v7
	v_mul_f32_e32 v7, v93, v7
	v_fma_f32 v4, v6, v93, -v4
	v_fmac_f32_e32 v7, v6, v85
	v_mul_f32_e32 v6, v94, v3
	v_fma_f32 v30, v2, v86, -v6
	v_mul_f32_e32 v6, v86, v3
	v_fmac_f32_e32 v6, v2, v94
	v_mul_f32_e32 v2, v95, v9
	v_fma_f32 v31, v8, v83, -v2
	v_mul_f32_e32 v9, v83, v9
	v_mul_f32_e32 v2, v55, v33
	v_fmac_f32_e32 v9, v8, v95
	v_fma_f32 v74, v32, v96, -v2
	v_mul_f32_e32 v8, v96, v33
	v_mul_f32_e32 v2, v56, v37
	v_fmac_f32_e32 v8, v32, v55
	;; [unrolled: 4-line block ×6, first 2 shown]
	v_fma_f32 v48, v46, v88, -v2
	v_mul_f32_e32 v47, v88, v47
	v_mul_f32_e32 v2, v102, v45
	ds_read_b32 v39, v64
	v_fmac_f32_e32 v47, v46, v89
	v_fma_f32 v46, v44, v101, -v2
	v_mul_f32_e32 v45, v101, v45
	v_mul_f32_e32 v2, v104, v27
	v_fmac_f32_e32 v45, v44, v102
	v_fma_f32 v44, v26, v103, -v2
	v_mul_f32_e32 v2, v106, v43
	v_fma_f32 v55, v42, v105, -v2
	v_mul_f32_e32 v2, v108, v51
	v_mul_f32_e32 v49, v103, v27
	v_fma_f32 v57, v50, v1, -v2
	v_mul_f32_e32 v1, v1, v51
	v_mul_f32_e32 v51, v52, v41
	v_fmac_f32_e32 v49, v26, v104
	v_mul_f32_e32 v2, v10, v41
	v_fmac_f32_e32 v51, v40, v10
	s_waitcnt lgkmcnt(0)
	v_sub_f32_e32 v10, v39, v82
	v_sub_f32_e32 v11, v91, v11
	;; [unrolled: 1-line block ×4, first 2 shown]
	v_fmac_f32_e32 v1, v50, v108
	v_fma_f32 v50, v40, v52, -v2
	v_add_f32_e32 v5, v10, v11
	v_sub_f32_e32 v40, v26, v27
	v_mul_f32_e32 v2, v5, v7
	v_mul_f32_e32 v3, v40, v7
	v_fma_f32 v2, v40, v4, -v2
	v_fmac_f32_e32 v3, v5, v4
	v_fma_f32 v7, v10, 2.0, -v5
	v_fma_f32 v4, v26, 2.0, -v40
	v_mul_f32_e32 v40, v7, v9
	v_mul_f32_e32 v5, v4, v9
	v_fma_f32 v9, v39, 2.0, -v10
	v_fma_f32 v10, v71, 2.0, -v26
	;; [unrolled: 1-line block ×3, first 2 shown]
	v_fmac_f32_e32 v5, v7, v31
	v_fma_f32 v7, v84, 2.0, -v27
	v_sub_f32_e32 v11, v10, v11
	v_sub_f32_e32 v26, v9, v7
	v_mul_f32_e32 v7, v11, v6
	v_fma_f32 v4, v4, v31, -v40
	v_mul_f32_e32 v27, v26, v6
	v_fmac_f32_e32 v7, v26, v30
	v_fma_f32 v26, v9, 2.0, -v26
	v_fma_f32 v10, v10, 2.0, -v11
	v_sub_f32_e32 v40, v68, v81
	v_sub_f32_e32 v41, v79, v98
	v_fma_f32 v6, v11, v30, -v27
	v_mul_f32_e32 v11, v26, v8
	v_mul_f32_e32 v9, v10, v8
	v_sub_f32_e32 v30, v70, v80
	v_sub_f32_e32 v39, v78, v97
	v_sub_f32_e32 v27, v40, v41
	v_fma_f32 v8, v10, v74, -v11
	v_fmac_f32_e32 v9, v26, v74
	v_add_f32_e32 v26, v30, v39
	v_mul_f32_e32 v11, v27, v33
	v_mul_f32_e32 v10, v26, v33
	v_fmac_f32_e32 v11, v26, v32
	v_fma_f32 v31, v30, 2.0, -v26
	v_fma_f32 v26, v40, 2.0, -v27
	v_fma_f32 v10, v27, v32, -v10
	v_mul_f32_e32 v32, v31, v37
	v_mul_f32_e32 v27, v26, v37
	v_fma_f32 v26, v26, v34, -v32
	v_fmac_f32_e32 v27, v31, v34
	v_fma_f32 v34, v70, 2.0, -v30
	global_load_dwordx2 v[30:31], v29, s[0:1] offset:2048
	v_fma_f32 v37, v68, 2.0, -v40
	v_fma_f32 v32, v78, 2.0, -v39
	;; [unrolled: 1-line block ×3, first 2 shown]
	v_sub_f32_e32 v39, v37, v32
	v_sub_f32_e32 v29, v34, v29
	v_mul_f32_e32 v33, v39, v35
	v_mul_f32_e32 v32, v29, v35
	v_fmac_f32_e32 v33, v29, v36
	v_fma_f32 v29, v34, 2.0, -v29
	v_fma_f32 v32, v39, v36, -v32
	v_fma_f32 v34, v37, 2.0, -v39
	v_mul_f32_e32 v36, v29, v38
	v_lshlrev_b32_sdwa v41, v75, v18 dst_sel:DWORD dst_unused:UNUSED_PAD src0_sel:DWORD src1_sel:BYTE_1
	v_mul_f32_e32 v35, v34, v38
	v_fma_f32 v34, v34, v54, -v36
	v_lshlrev_b32_sdwa v40, v75, v18 dst_sel:DWORD dst_unused:UNUSED_PAD src0_sel:DWORD src1_sel:BYTE_0
	global_load_dwordx2 v[36:37], v41, s[0:1] offset:2048
	global_load_dwordx2 v[38:39], v40, s[0:1]
	v_bfe_u32 v18, v18, 16, 8
	v_lshl_or_b32 v18, v18, 3, v28
	v_fmac_f32_e32 v35, v29, v54
	global_load_dwordx2 v[28:29], v18, s[0:1]
	v_sub_f32_e32 v54, v65, v77
	v_sub_f32_e32 v58, v63, v100
	v_mul_f32_e32 v56, v105, v43
	v_sub_f32_e32 v18, v72, v76
	v_sub_f32_e32 v52, v62, v99
	;; [unrolled: 1-line block ×3, first 2 shown]
	v_fmac_f32_e32 v56, v42, v106
	v_add_f32_e32 v42, v18, v52
	v_mul_f32_e32 v41, v43, v47
	v_mul_f32_e32 v40, v42, v47
	v_fmac_f32_e32 v41, v42, v48
	v_fma_f32 v47, v18, 2.0, -v42
	v_fma_f32 v42, v54, 2.0, -v43
	v_fma_f32 v40, v43, v48, -v40
	v_mul_f32_e32 v48, v47, v49
	v_mul_f32_e32 v43, v42, v49
	v_fma_f32 v42, v42, v44, -v48
	v_fmac_f32_e32 v43, v47, v44
	v_fma_f32 v18, v72, 2.0, -v18
	v_fma_f32 v44, v63, 2.0, -v58
	;; [unrolled: 1-line block ×4, first 2 shown]
	v_sub_f32_e32 v49, v18, v44
	v_sub_f32_e32 v48, v47, v48
	v_mul_f32_e32 v44, v49, v45
	v_mul_f32_e32 v45, v48, v45
	v_fma_f32 v44, v48, v46, -v44
	v_fmac_f32_e32 v45, v49, v46
	v_fma_f32 v46, v47, 2.0, -v48
	v_fma_f32 v18, v18, 2.0, -v49
	v_mul_f32_e32 v47, v46, v56
	v_mul_f32_e32 v48, v18, v56
	v_fmac_f32_e32 v47, v18, v55
	v_sub_f32_e32 v18, v24, v109
	v_sub_f32_e32 v54, v20, v110
	v_fma_f32 v46, v46, v55, -v48
	v_add_f32_e32 v52, v18, v25
	v_sub_f32_e32 v55, v54, v53
	v_mul_f32_e32 v48, v52, v1
	v_mul_f32_e32 v49, v55, v1
	v_fma_f32 v1, v21, 2.0, -v53
	v_fma_f32 v48, v55, v57, -v48
	v_fmac_f32_e32 v49, v52, v57
	v_fma_f32 v57, v20, 2.0, -v54
	s_movk_i32 s0, 0xc0
	v_fma_f32 v24, v24, 2.0, -v18
	v_and_or_b32 v53, v0, s0, v107
	v_fma_f32 v18, v18, 2.0, -v52
	v_sub_f32_e32 v56, v24, v1
	v_fma_f32 v0, v67, 2.0, -v25
	v_fma_f32 v16, v24, 2.0, -v56
	v_sub_f32_e32 v25, v57, v0
	v_mul_f32_e32 v0, v56, v51
	v_mul_f32_e32 v1, v25, v51
	v_fma_f32 v0, v25, v50, -v0
	v_fmac_f32_e32 v1, v56, v50
	s_waitcnt vmcnt(3)
	v_mul_f32_e32 v21, v22, v31
	v_mul_f32_e32 v20, v23, v31
	v_fmac_f32_e32 v21, v23, v30
	v_fma_f32 v20, v22, v30, -v20
	v_mul_f32_e32 v22, v21, v13
	v_fma_f32 v22, v12, v20, -v22
	v_mul_f32_e32 v20, v20, v13
	v_fma_f32 v23, v54, 2.0, -v55
	v_fmac_f32_e32 v20, v12, v21
	v_mul_f32_e32 v13, v23, v20
	v_mul_f32_e32 v12, v18, v20
	v_mad_u64_u32 v[20:21], s[0:1], s4, v53, v[14:15]
	v_mov_b32_e32 v21, 0
	v_fmac_f32_e32 v13, v18, v22
	v_fma_f32 v12, v23, v22, -v12
	v_lshl_add_u64 v[22:23], v[20:21], 3, s[8:9]
	s_waitcnt vmcnt(1)
	v_mul_f32_e32 v20, v38, v37
	v_mul_f32_e32 v18, v39, v37
	v_fmac_f32_e32 v20, v36, v39
	v_fma_f32 v18, v38, v36, -v18
	s_waitcnt vmcnt(0)
	v_mul_f32_e32 v24, v29, v20
	v_fma_f32 v24, v28, v18, -v24
	v_mul_f32_e32 v18, v29, v18
	v_fma_f32 v30, v57, 2.0, -v25
	v_fmac_f32_e32 v18, v28, v20
	v_mul_f32_e32 v25, v30, v18
	v_fmac_f32_e32 v25, v16, v24
	v_mul_f32_e32 v16, v16, v18
	v_fma_f32 v24, v30, v24, -v16
	v_or_b32_e32 v16, 16, v53
	global_store_dwordx2 v[22:23], v[24:25], off
	v_mad_u64_u32 v[22:23], s[0:1], s4, v16, v[14:15]
	v_mov_b32_e32 v23, v21
	v_lshl_add_u64 v[22:23], v[22:23], 3, s[8:9]
	global_store_dwordx2 v[22:23], v[12:13], off
	v_or_b32_e32 v12, 32, v53
	v_mad_u64_u32 v[12:13], s[0:1], s4, v12, v[14:15]
	v_mov_b32_e32 v13, v21
	v_lshl_add_u64 v[12:13], v[12:13], 3, s[8:9]
	global_store_dwordx2 v[12:13], v[0:1], off
	v_or_b32_e32 v0, 48, v53
	v_mad_u64_u32 v[0:1], s[0:1], s4, v0, v[14:15]
	v_mov_b32_e32 v1, v21
	v_lshl_add_u64 v[0:1], v[0:1], 3, s[8:9]
	v_and_or_b32 v12, v19, s2, v73
	global_store_dwordx2 v[0:1], v[48:49], off
	v_mad_u64_u32 v[0:1], s[0:1], s4, v12, v[14:15]
	v_mov_b32_e32 v1, v21
	v_lshl_add_u64 v[0:1], v[0:1], 3, s[8:9]
	global_store_dwordx2 v[0:1], v[46:47], off
	v_or_b32_e32 v0, 16, v12
	v_mad_u64_u32 v[0:1], s[0:1], s4, v0, v[14:15]
	v_mov_b32_e32 v1, v21
	v_lshl_add_u64 v[0:1], v[0:1], 3, s[8:9]
	global_store_dwordx2 v[0:1], v[42:43], off
	v_or_b32_e32 v0, 32, v12
	;; [unrolled: 5-line block ×3, first 2 shown]
	v_mad_u64_u32 v[0:1], s[0:1], s4, v0, v[14:15]
	v_mov_b32_e32 v1, v21
	v_lshl_add_u64 v[0:1], v[0:1], 3, s[8:9]
	v_and_or_b32 v12, v17, s2, v66
	global_store_dwordx2 v[0:1], v[40:41], off
	v_mad_u64_u32 v[0:1], s[0:1], s4, v12, v[14:15]
	v_mov_b32_e32 v1, v21
	v_lshl_add_u64 v[0:1], v[0:1], 3, s[8:9]
	global_store_dwordx2 v[0:1], v[34:35], off
	v_or_b32_e32 v0, 16, v12
	v_mad_u64_u32 v[0:1], s[0:1], s4, v0, v[14:15]
	v_mov_b32_e32 v1, v21
	v_lshl_add_u64 v[0:1], v[0:1], 3, s[8:9]
	global_store_dwordx2 v[0:1], v[26:27], off
	v_or_b32_e32 v0, 32, v12
	;; [unrolled: 5-line block ×3, first 2 shown]
	v_mad_u64_u32 v[0:1], s[0:1], s4, v0, v[14:15]
	v_mov_b32_e32 v1, v21
	v_lshl_add_u64 v[0:1], v[0:1], 3, s[8:9]
	global_store_dwordx2 v[0:1], v[10:11], off
	v_and_or_b32 v10, v15, s2, v69
	v_mad_u64_u32 v[0:1], s[0:1], s4, v10, v[14:15]
	v_mov_b32_e32 v1, v21
	v_lshl_add_u64 v[0:1], v[0:1], 3, s[8:9]
	global_store_dwordx2 v[0:1], v[8:9], off
	v_or_b32_e32 v0, 16, v10
	v_mad_u64_u32 v[0:1], s[0:1], s4, v0, v[14:15]
	v_mov_b32_e32 v1, v21
	v_lshl_add_u64 v[0:1], v[0:1], 3, s[8:9]
	global_store_dwordx2 v[0:1], v[4:5], off
	v_or_b32_e32 v0, 32, v10
	;; [unrolled: 5-line block ×3, first 2 shown]
	v_mad_u64_u32 v[0:1], s[0:1], s4, v0, v[14:15]
	v_mov_b32_e32 v1, v21
	v_lshl_add_u64 v[0:1], v[0:1], 3, s[8:9]
	global_store_dwordx2 v[0:1], v[2:3], off
.LBB0_36:
	s_endpgm
	.section	.rodata,"a",@progbits
	.p2align	6, 0x0
	.amdhsa_kernel fft_rtc_fwd_len64_factors_4_4_4_wgs_64_tpt_4_halfLds_dim2_sp_ip_CI_sbcc_twdbase8_3step_dirReg_intrinsicReadWrite
		.amdhsa_group_segment_fixed_size 0
		.amdhsa_private_segment_fixed_size 0
		.amdhsa_kernarg_size 88
		.amdhsa_user_sgpr_count 2
		.amdhsa_user_sgpr_dispatch_ptr 0
		.amdhsa_user_sgpr_queue_ptr 0
		.amdhsa_user_sgpr_kernarg_segment_ptr 1
		.amdhsa_user_sgpr_dispatch_id 0
		.amdhsa_user_sgpr_kernarg_preload_length 0
		.amdhsa_user_sgpr_kernarg_preload_offset 0
		.amdhsa_user_sgpr_private_segment_size 0
		.amdhsa_uses_dynamic_stack 0
		.amdhsa_enable_private_segment 0
		.amdhsa_system_sgpr_workgroup_id_x 1
		.amdhsa_system_sgpr_workgroup_id_y 0
		.amdhsa_system_sgpr_workgroup_id_z 0
		.amdhsa_system_sgpr_workgroup_info 0
		.amdhsa_system_vgpr_workitem_id 0
		.amdhsa_next_free_vgpr 112
		.amdhsa_next_free_sgpr 20
		.amdhsa_accum_offset 112
		.amdhsa_reserve_vcc 1
		.amdhsa_float_round_mode_32 0
		.amdhsa_float_round_mode_16_64 0
		.amdhsa_float_denorm_mode_32 3
		.amdhsa_float_denorm_mode_16_64 3
		.amdhsa_dx10_clamp 1
		.amdhsa_ieee_mode 1
		.amdhsa_fp16_overflow 0
		.amdhsa_tg_split 0
		.amdhsa_exception_fp_ieee_invalid_op 0
		.amdhsa_exception_fp_denorm_src 0
		.amdhsa_exception_fp_ieee_div_zero 0
		.amdhsa_exception_fp_ieee_overflow 0
		.amdhsa_exception_fp_ieee_underflow 0
		.amdhsa_exception_fp_ieee_inexact 0
		.amdhsa_exception_int_div_zero 0
	.end_amdhsa_kernel
	.text
.Lfunc_end0:
	.size	fft_rtc_fwd_len64_factors_4_4_4_wgs_64_tpt_4_halfLds_dim2_sp_ip_CI_sbcc_twdbase8_3step_dirReg_intrinsicReadWrite, .Lfunc_end0-fft_rtc_fwd_len64_factors_4_4_4_wgs_64_tpt_4_halfLds_dim2_sp_ip_CI_sbcc_twdbase8_3step_dirReg_intrinsicReadWrite
                                        ; -- End function
	.section	.AMDGPU.csdata,"",@progbits
; Kernel info:
; codeLenInByte = 6628
; NumSgprs: 26
; NumVgprs: 112
; NumAgprs: 0
; TotalNumVgprs: 112
; ScratchSize: 0
; MemoryBound: 0
; FloatMode: 240
; IeeeMode: 1
; LDSByteSize: 0 bytes/workgroup (compile time only)
; SGPRBlocks: 3
; VGPRBlocks: 13
; NumSGPRsForWavesPerEU: 26
; NumVGPRsForWavesPerEU: 112
; AccumOffset: 112
; Occupancy: 4
; WaveLimiterHint : 1
; COMPUTE_PGM_RSRC2:SCRATCH_EN: 0
; COMPUTE_PGM_RSRC2:USER_SGPR: 2
; COMPUTE_PGM_RSRC2:TRAP_HANDLER: 0
; COMPUTE_PGM_RSRC2:TGID_X_EN: 1
; COMPUTE_PGM_RSRC2:TGID_Y_EN: 0
; COMPUTE_PGM_RSRC2:TGID_Z_EN: 0
; COMPUTE_PGM_RSRC2:TIDIG_COMP_CNT: 0
; COMPUTE_PGM_RSRC3_GFX90A:ACCUM_OFFSET: 27
; COMPUTE_PGM_RSRC3_GFX90A:TG_SPLIT: 0
	.text
	.p2alignl 6, 3212836864
	.fill 256, 4, 3212836864
	.type	__hip_cuid_21bba07b7445e6fc,@object ; @__hip_cuid_21bba07b7445e6fc
	.section	.bss,"aw",@nobits
	.globl	__hip_cuid_21bba07b7445e6fc
__hip_cuid_21bba07b7445e6fc:
	.byte	0                               ; 0x0
	.size	__hip_cuid_21bba07b7445e6fc, 1

	.ident	"AMD clang version 19.0.0git (https://github.com/RadeonOpenCompute/llvm-project roc-6.4.0 25133 c7fe45cf4b819c5991fe208aaa96edf142730f1d)"
	.section	".note.GNU-stack","",@progbits
	.addrsig
	.addrsig_sym __hip_cuid_21bba07b7445e6fc
	.amdgpu_metadata
---
amdhsa.kernels:
  - .agpr_count:     0
    .args:
      - .actual_access:  read_only
        .address_space:  global
        .offset:         0
        .size:           8
        .value_kind:     global_buffer
      - .address_space:  global
        .offset:         8
        .size:           8
        .value_kind:     global_buffer
      - .actual_access:  read_only
        .address_space:  global
        .offset:         16
        .size:           8
        .value_kind:     global_buffer
      - .actual_access:  read_only
        .address_space:  global
        .offset:         24
        .size:           8
        .value_kind:     global_buffer
      - .offset:         32
        .size:           8
        .value_kind:     by_value
      - .actual_access:  read_only
        .address_space:  global
        .offset:         40
        .size:           8
        .value_kind:     global_buffer
      - .actual_access:  read_only
        .address_space:  global
        .offset:         48
        .size:           8
        .value_kind:     global_buffer
      - .offset:         56
        .size:           4
        .value_kind:     by_value
      - .actual_access:  read_only
        .address_space:  global
        .offset:         64
        .size:           8
        .value_kind:     global_buffer
      - .actual_access:  read_only
        .address_space:  global
        .offset:         72
        .size:           8
        .value_kind:     global_buffer
      - .address_space:  global
        .offset:         80
        .size:           8
        .value_kind:     global_buffer
    .group_segment_fixed_size: 0
    .kernarg_segment_align: 8
    .kernarg_segment_size: 88
    .language:       OpenCL C
    .language_version:
      - 2
      - 0
    .max_flat_workgroup_size: 64
    .name:           fft_rtc_fwd_len64_factors_4_4_4_wgs_64_tpt_4_halfLds_dim2_sp_ip_CI_sbcc_twdbase8_3step_dirReg_intrinsicReadWrite
    .private_segment_fixed_size: 0
    .sgpr_count:     26
    .sgpr_spill_count: 0
    .symbol:         fft_rtc_fwd_len64_factors_4_4_4_wgs_64_tpt_4_halfLds_dim2_sp_ip_CI_sbcc_twdbase8_3step_dirReg_intrinsicReadWrite.kd
    .uniform_work_group_size: 1
    .uses_dynamic_stack: false
    .vgpr_count:     112
    .vgpr_spill_count: 0
    .wavefront_size: 64
amdhsa.target:   amdgcn-amd-amdhsa--gfx950
amdhsa.version:
  - 1
  - 2
...

	.end_amdgpu_metadata
